;; amdgpu-corpus repo=ROCm/rocFFT kind=compiled arch=gfx950 opt=O3
	.text
	.amdgcn_target "amdgcn-amd-amdhsa--gfx950"
	.amdhsa_code_object_version 6
	.protected	fft_rtc_back_len208_factors_13_16_wgs_64_tpt_16_halfLds_sp_op_CI_CI_unitstride_sbrr_dirReg ; -- Begin function fft_rtc_back_len208_factors_13_16_wgs_64_tpt_16_halfLds_sp_op_CI_CI_unitstride_sbrr_dirReg
	.globl	fft_rtc_back_len208_factors_13_16_wgs_64_tpt_16_halfLds_sp_op_CI_CI_unitstride_sbrr_dirReg
	.p2align	8
	.type	fft_rtc_back_len208_factors_13_16_wgs_64_tpt_16_halfLds_sp_op_CI_CI_unitstride_sbrr_dirReg,@function
fft_rtc_back_len208_factors_13_16_wgs_64_tpt_16_halfLds_sp_op_CI_CI_unitstride_sbrr_dirReg: ; @fft_rtc_back_len208_factors_13_16_wgs_64_tpt_16_halfLds_sp_op_CI_CI_unitstride_sbrr_dirReg
; %bb.0:
	s_load_dwordx4 s[4:7], s[0:1], 0x58
	s_load_dwordx4 s[8:11], s[0:1], 0x0
	;; [unrolled: 1-line block ×3, first 2 shown]
	v_lshrrev_b32_e32 v34, 4, v0
	v_lshl_or_b32 v10, s2, 2, v34
	v_mov_b32_e32 v4, 0
	s_waitcnt lgkmcnt(0)
	v_cmp_lt_u64_e64 s[2:3], s[10:11], 2
	v_mov_b32_e32 v11, v4
	s_and_b64 vcc, exec, s[2:3]
	v_mov_b64_e32 v[8:9], 0
	s_cbranch_vccnz .LBB0_8
; %bb.1:
	s_load_dwordx2 s[2:3], s[0:1], 0x10
	s_add_u32 s16, s14, 8
	s_addc_u32 s17, s15, 0
	s_add_u32 s18, s12, 8
	s_addc_u32 s19, s13, 0
	s_waitcnt lgkmcnt(0)
	s_add_u32 s20, s2, 8
	v_mov_b64_e32 v[8:9], 0
	s_addc_u32 s21, s3, 0
	s_mov_b64 s[22:23], 1
	v_mov_b64_e32 v[2:3], v[8:9]
.LBB0_2:                                ; =>This Inner Loop Header: Depth=1
	s_load_dwordx2 s[24:25], s[20:21], 0x0
                                        ; implicit-def: $vgpr6_vgpr7
	s_waitcnt lgkmcnt(0)
	v_or_b32_e32 v5, s25, v11
	v_cmp_ne_u64_e32 vcc, 0, v[4:5]
	s_and_saveexec_b64 s[2:3], vcc
	s_xor_b64 s[26:27], exec, s[2:3]
	s_cbranch_execz .LBB0_4
; %bb.3:                                ;   in Loop: Header=BB0_2 Depth=1
	v_cvt_f32_u32_e32 v1, s24
	v_cvt_f32_u32_e32 v5, s25
	s_sub_u32 s2, 0, s24
	s_subb_u32 s3, 0, s25
	v_fmac_f32_e32 v1, 0x4f800000, v5
	v_rcp_f32_e32 v1, v1
	s_nop 0
	v_mul_f32_e32 v1, 0x5f7ffffc, v1
	v_mul_f32_e32 v5, 0x2f800000, v1
	v_trunc_f32_e32 v5, v5
	v_fmac_f32_e32 v1, 0xcf800000, v5
	v_cvt_u32_f32_e32 v5, v5
	v_cvt_u32_f32_e32 v1, v1
	v_mul_lo_u32 v6, s2, v5
	v_mul_hi_u32 v12, s2, v1
	v_mul_lo_u32 v7, s3, v1
	v_add_u32_e32 v12, v12, v6
	v_mul_lo_u32 v14, s2, v1
	v_add_u32_e32 v15, v12, v7
	v_mul_hi_u32 v6, v1, v14
	v_mul_hi_u32 v13, v1, v15
	v_mul_lo_u32 v12, v1, v15
	v_mov_b32_e32 v7, v4
	v_lshl_add_u64 v[6:7], v[6:7], 0, v[12:13]
	v_mul_hi_u32 v13, v5, v14
	v_mul_lo_u32 v14, v5, v14
	v_add_co_u32_e32 v6, vcc, v6, v14
	v_mul_hi_u32 v12, v5, v15
	s_nop 0
	v_addc_co_u32_e32 v6, vcc, v7, v13, vcc
	v_mov_b32_e32 v7, v4
	s_nop 0
	v_addc_co_u32_e32 v13, vcc, 0, v12, vcc
	v_mul_lo_u32 v12, v5, v15
	v_lshl_add_u64 v[6:7], v[6:7], 0, v[12:13]
	v_add_co_u32_e32 v1, vcc, v1, v6
	v_mul_lo_u32 v12, s2, v1
	s_nop 0
	v_addc_co_u32_e32 v5, vcc, v5, v7, vcc
	v_mul_lo_u32 v6, s2, v5
	v_mul_hi_u32 v7, s2, v1
	v_add_u32_e32 v6, v7, v6
	v_mul_lo_u32 v7, s3, v1
	v_add_u32_e32 v14, v6, v7
	v_mul_hi_u32 v16, v5, v12
	v_mul_lo_u32 v17, v5, v12
	v_mul_hi_u32 v7, v1, v14
	v_mul_lo_u32 v6, v1, v14
	v_mul_hi_u32 v12, v1, v12
	v_mov_b32_e32 v13, v4
	v_lshl_add_u64 v[6:7], v[12:13], 0, v[6:7]
	v_add_co_u32_e32 v6, vcc, v6, v17
	v_mul_hi_u32 v15, v5, v14
	s_nop 0
	v_addc_co_u32_e32 v6, vcc, v7, v16, vcc
	v_mul_lo_u32 v12, v5, v14
	s_nop 0
	v_addc_co_u32_e32 v13, vcc, 0, v15, vcc
	v_mov_b32_e32 v7, v4
	v_lshl_add_u64 v[6:7], v[6:7], 0, v[12:13]
	v_add_co_u32_e32 v1, vcc, v1, v6
	v_mul_hi_u32 v12, v10, v1
	s_nop 0
	v_addc_co_u32_e32 v5, vcc, v5, v7, vcc
	v_mad_u64_u32 v[6:7], s[2:3], v10, v5, 0
	v_mov_b32_e32 v13, v4
	v_lshl_add_u64 v[6:7], v[12:13], 0, v[6:7]
	v_mad_u64_u32 v[14:15], s[2:3], v11, v1, 0
	v_add_co_u32_e32 v1, vcc, v6, v14
	v_mad_u64_u32 v[12:13], s[2:3], v11, v5, 0
	s_nop 0
	v_addc_co_u32_e32 v6, vcc, v7, v15, vcc
	v_mov_b32_e32 v7, v4
	s_nop 0
	v_addc_co_u32_e32 v13, vcc, 0, v13, vcc
	v_lshl_add_u64 v[6:7], v[6:7], 0, v[12:13]
	v_mul_lo_u32 v1, s25, v6
	v_mul_lo_u32 v5, s24, v7
	v_mad_u64_u32 v[12:13], s[2:3], s24, v6, 0
	v_add3_u32 v1, v13, v5, v1
	v_sub_u32_e32 v5, v11, v1
	v_mov_b32_e32 v13, s25
	v_sub_co_u32_e32 v16, vcc, v10, v12
	v_lshl_add_u64 v[14:15], v[6:7], 0, 1
	s_nop 0
	v_subb_co_u32_e64 v5, s[2:3], v5, v13, vcc
	v_subrev_co_u32_e64 v12, s[2:3], s24, v16
	v_subb_co_u32_e32 v1, vcc, v11, v1, vcc
	s_nop 0
	v_subbrev_co_u32_e64 v5, s[2:3], 0, v5, s[2:3]
	v_cmp_le_u32_e64 s[2:3], s25, v5
	v_cmp_le_u32_e32 vcc, s25, v1
	s_nop 0
	v_cndmask_b32_e64 v13, 0, -1, s[2:3]
	v_cmp_le_u32_e64 s[2:3], s24, v12
	s_nop 1
	v_cndmask_b32_e64 v12, 0, -1, s[2:3]
	v_cmp_eq_u32_e64 s[2:3], s25, v5
	s_nop 1
	v_cndmask_b32_e64 v5, v13, v12, s[2:3]
	v_lshl_add_u64 v[12:13], v[6:7], 0, 2
	v_cmp_ne_u32_e64 s[2:3], 0, v5
	s_nop 1
	v_cndmask_b32_e64 v5, v15, v13, s[2:3]
	v_cndmask_b32_e64 v13, 0, -1, vcc
	v_cmp_le_u32_e32 vcc, s24, v16
	s_nop 1
	v_cndmask_b32_e64 v15, 0, -1, vcc
	v_cmp_eq_u32_e32 vcc, s25, v1
	s_nop 1
	v_cndmask_b32_e32 v1, v13, v15, vcc
	v_cmp_ne_u32_e32 vcc, 0, v1
	v_cndmask_b32_e64 v1, v14, v12, s[2:3]
	s_nop 0
	v_cndmask_b32_e32 v7, v7, v5, vcc
	v_cndmask_b32_e32 v6, v6, v1, vcc
.LBB0_4:                                ;   in Loop: Header=BB0_2 Depth=1
	s_andn2_saveexec_b64 s[2:3], s[26:27]
	s_cbranch_execz .LBB0_6
; %bb.5:                                ;   in Loop: Header=BB0_2 Depth=1
	v_cvt_f32_u32_e32 v1, s24
	s_sub_i32 s26, 0, s24
	v_rcp_iflag_f32_e32 v1, v1
	s_nop 0
	v_mul_f32_e32 v1, 0x4f7ffffe, v1
	v_cvt_u32_f32_e32 v1, v1
	v_mul_lo_u32 v5, s26, v1
	v_mul_hi_u32 v5, v1, v5
	v_add_u32_e32 v1, v1, v5
	v_mul_hi_u32 v1, v10, v1
	v_mul_lo_u32 v5, v1, s24
	v_sub_u32_e32 v5, v10, v5
	v_add_u32_e32 v6, 1, v1
	v_subrev_u32_e32 v7, s24, v5
	v_cmp_le_u32_e32 vcc, s24, v5
	s_nop 1
	v_cndmask_b32_e32 v5, v5, v7, vcc
	v_cndmask_b32_e32 v1, v1, v6, vcc
	v_add_u32_e32 v6, 1, v1
	v_cmp_le_u32_e32 vcc, s24, v5
	v_mov_b32_e32 v7, v4
	s_nop 0
	v_cndmask_b32_e32 v6, v1, v6, vcc
.LBB0_6:                                ;   in Loop: Header=BB0_2 Depth=1
	s_or_b64 exec, exec, s[2:3]
	v_mad_u64_u32 v[12:13], s[2:3], v6, s24, 0
	s_load_dwordx2 s[2:3], s[18:19], 0x0
	v_mul_lo_u32 v1, v7, s24
	v_mul_lo_u32 v5, v6, s25
	s_load_dwordx2 s[24:25], s[16:17], 0x0
	s_add_u32 s22, s22, 1
	v_add3_u32 v1, v13, v5, v1
	v_sub_co_u32_e32 v5, vcc, v10, v12
	s_addc_u32 s23, s23, 0
	s_nop 0
	v_subb_co_u32_e32 v1, vcc, v11, v1, vcc
	s_add_u32 s16, s16, 8
	s_waitcnt lgkmcnt(0)
	v_mul_lo_u32 v10, s2, v1
	v_mul_lo_u32 v11, s3, v5
	v_mad_u64_u32 v[8:9], s[2:3], s2, v5, v[8:9]
	s_addc_u32 s17, s17, 0
	v_add3_u32 v9, v11, v9, v10
	v_mul_lo_u32 v1, s24, v1
	v_mul_lo_u32 v10, s25, v5
	v_mad_u64_u32 v[2:3], s[2:3], s24, v5, v[2:3]
	s_add_u32 s18, s18, 8
	v_add3_u32 v3, v10, v3, v1
	s_addc_u32 s19, s19, 0
	v_mov_b64_e32 v[10:11], s[10:11]
	s_add_u32 s20, s20, 8
	v_cmp_ge_u64_e32 vcc, s[22:23], v[10:11]
	s_addc_u32 s21, s21, 0
	s_cbranch_vccnz .LBB0_9
; %bb.7:                                ;   in Loop: Header=BB0_2 Depth=1
	v_mov_b64_e32 v[10:11], v[6:7]
	s_branch .LBB0_2
.LBB0_8:
	v_mov_b64_e32 v[2:3], v[8:9]
	v_mov_b64_e32 v[6:7], v[10:11]
.LBB0_9:
	s_load_dwordx2 s[0:1], s[0:1], 0x28
	s_lshl_b64 s[10:11], s[10:11], 3
	s_add_u32 s2, s14, s10
	s_addc_u32 s3, s15, s11
	v_and_b32_e32 v4, 15, v0
	s_waitcnt lgkmcnt(0)
	v_cmp_gt_u64_e32 vcc, s[0:1], v[6:7]
	v_cmp_le_u64_e64 s[0:1], s[0:1], v[6:7]
                                        ; implicit-def: $sgpr14_sgpr15
	s_and_saveexec_b64 s[16:17], s[0:1]
	s_xor_b64 s[0:1], exec, s[16:17]
; %bb.10:
	v_and_b32_e32 v4, 15, v0
	s_mov_b64 s[14:15], 0
                                        ; implicit-def: $vgpr8_vgpr9
; %bb.11:
	s_or_saveexec_b64 s[0:1], s[0:1]
	v_mov_b64_e32 v[18:19], s[14:15]
                                        ; implicit-def: $vgpr42
                                        ; implicit-def: $vgpr32
                                        ; implicit-def: $vgpr28
                                        ; implicit-def: $vgpr30
                                        ; implicit-def: $vgpr24
                                        ; implicit-def: $vgpr26
                                        ; implicit-def: $vgpr46
                                        ; implicit-def: $vgpr36
                                        ; implicit-def: $vgpr22
                                        ; implicit-def: $vgpr40
                                        ; implicit-def: $vgpr49
                                        ; implicit-def: $vgpr45
                                        ; implicit-def: $vgpr38
	s_xor_b64 exec, exec, s[0:1]
	s_cbranch_execz .LBB0_13
; %bb.12:
	s_add_u32 s10, s12, s10
	s_addc_u32 s11, s13, s11
	s_load_dwordx2 s[10:11], s[10:11], 0x0
	v_lshlrev_b32_e32 v0, 3, v4
	s_waitcnt lgkmcnt(0)
	v_mul_lo_u32 v1, s11, v6
	v_mul_lo_u32 v5, s10, v7
	v_mad_u64_u32 v[10:11], s[10:11], s10, v6, 0
	v_add3_u32 v11, v11, v5, v1
	v_lshl_add_u64 v[10:11], v[10:11], 3, s[4:5]
	v_lshl_add_u64 v[8:9], v[8:9], 3, v[10:11]
	v_mov_b32_e32 v1, 0
	v_lshl_add_u64 v[0:1], v[8:9], 0, v[0:1]
	global_load_dwordx2 v[32:33], v[0:1], off offset:512
	global_load_dwordx2 v[8:9], v[0:1], off offset:128
	;; [unrolled: 1-line block ×11, first 2 shown]
	global_load_dwordx2 v[18:19], v[0:1], off
	global_load_dwordx2 v[40:41], v[0:1], off offset:256
	s_waitcnt vmcnt(12)
	v_mov_b32_e32 v42, v33
	s_waitcnt vmcnt(11)
	v_mov_b32_e32 v43, v9
	v_mov_b32_e32 v33, v8
	s_waitcnt vmcnt(10)
	v_mov_b32_e32 v28, v10
	s_waitcnt vmcnt(9)
	v_mov_b32_e32 v29, v24
	s_waitcnt vmcnt(8)
	v_mov_b32_e32 v30, v12
	s_waitcnt vmcnt(7)
	v_mov_b32_e32 v31, v26
	v_mov_b32_e32 v24, v11
	;; [unrolled: 1-line block ×3, first 2 shown]
	s_waitcnt vmcnt(6)
	v_mov_b32_e32 v46, v14
	s_waitcnt vmcnt(5)
	v_mov_b32_e32 v47, v36
	v_mov_b32_e32 v36, v15
	s_waitcnt vmcnt(4)
	v_mov_b32_e32 v22, v39
	s_waitcnt vmcnt(3)
	;; [unrolled: 2-line block ×3, first 2 shown]
	v_mov_b32_e32 v49, v44
	v_mov_b32_e32 v39, v16
.LBB0_13:
	s_or_b64 exec, exec, s[0:1]
	s_waitcnt vmcnt(1)
	v_add_f32_e32 v0, v33, v18
	s_waitcnt vmcnt(0)
	v_add_f32_e32 v0, v40, v0
	v_add_f32_e32 v0, v49, v0
	v_mov_b32_e32 v1, v39
	s_mov_b32 s5, 0x3f62ad3f
	v_pk_add_f32 v[54:55], v[32:33], v[0:1]
	v_mov_b32_e32 v1, 0x3f62ad3f
	v_mov_b32_e32 v0, v29
	;; [unrolled: 1-line block ×4, first 2 shown]
	v_pk_add_f32 v[0:1], v[0:1], v[54:55]
	v_pk_mul_f32 v[56:57], v[54:55], s[4:5]
	v_pk_add_f32 v[58:59], v[58:59], v[22:23] neg_lo:[0,1] neg_hi:[0,1]
	s_mov_b32 s19, 0xbeedf032
	s_mov_b32 s18, 0xbf52af12
	v_pk_add_f32 v[12:13], v[40:41], v[38:39]
	v_mov_b32_e32 v44, v42
	s_mov_b32 s14, 0xbf6f5d39
	v_mov_b32_e32 v1, v57
	v_pk_mul_f32 v[60:61], v[58:59], s[18:19]
	v_mul_f32_e32 v8, 0x3f116cb1, v12
	v_mov_b32_e32 v48, v32
	v_pk_add_f32 v[52:53], v[44:45], v[36:37] neg_lo:[0,1] neg_hi:[0,1]
	s_mov_b32 s15, 0xbf7e222b
	v_mov_b32_e32 v62, v28
	v_mov_b32_e32 v63, v61
	;; [unrolled: 1-line block ×3, first 2 shown]
	v_pk_add_f32 v[50:51], v[48:49], v[46:47]
	s_mov_b32 s13, 0x3df6dbef
	s_mov_b32 s12, 0xbeb58ec6
	v_pk_mul_f32 v[10:11], v[52:53], s[14:15]
	v_mov_b32_e32 v56, v30
	v_mov_b32_e32 v57, v18
	v_fmac_f32_e32 v60, 0x3f116cb1, v12
	v_pk_add_f32 v[62:63], v[62:63], v[0:1]
	v_pk_fma_f32 v[0:1], v[58:59], s[18:19], v[8:9] neg_lo:[1,0,0] neg_hi:[1,0,0]
	v_pk_fma_f32 v[14:15], v[50:51], s[12:13], v[10:11]
	v_pk_add_f32 v[56:57], v[56:57], v[62:63]
	v_add_f32_e32 v1, v1, v18
	v_mov_b32_e32 v8, v31
	v_mov_b32_e32 v9, v60
	s_mov_b32 s0, 0xbf788fa5
	s_mov_b32 s21, 0xbf29c268
	v_pk_add_f32 v[20:21], v[24:25], v[26:27] neg_lo:[0,1] neg_hi:[0,1]
	s_mov_b32 s20, 0xbe750f2a
	v_pk_add_f32 v[8:9], v[8:9], v[56:57]
	v_add_f32_e32 v5, v0, v1
	v_mov_b32_e32 v0, v46
	v_mov_b32_e32 v1, v15
	s_mov_b32 s1, 0xbf3f9e67
	v_pk_fma_f32 v[10:11], v[50:51], s[12:13], v[10:11] neg_lo:[0,0,1] neg_hi:[0,0,1]
	v_pk_add_f32 v[16:17], v[28:29], v[30:31]
	v_pk_add_f32 v[0:1], v[0:1], v[8:9]
	v_mov_b32_e32 v8, v47
	v_mov_b32_e32 v9, v14
	v_pk_mul_f32 v[56:57], v[20:21], s[20:21]
	v_add_f32_e32 v5, v11, v5
	v_pk_add_f32 v[0:1], v[8:9], v[0:1]
	v_pk_fma_f32 v[8:9], v[16:17], s[0:1], v[56:57]
	s_mov_b32 s11, 0x3f116cb1
	v_add_f32_e32 v5, v10, v5
	v_mov_b32_e32 v10, v38
	v_mov_b32_e32 v11, v9
	s_mov_b32 s19, s15
	s_mov_b32 s27, 0x3f6f5d39
	;; [unrolled: 1-line block ×3, first 2 shown]
	v_pk_add_f32 v[0:1], v[10:11], v[0:1]
	v_mov_b32_e32 v11, v8
	v_pk_mul_f32 v[8:9], v[58:59], s[18:19] op_sel:[1,0]
	s_mov_b32 s24, s14
	s_mov_b32 s25, s20
	v_pk_mul_f32 v[60:61], v[52:53], s[26:27] op_sel:[1,0]
	s_mov_b32 s26, s11
	s_mov_b32 s27, s13
	v_mov_b32_e32 v10, v39
	s_mov_b32 s22, s12
	s_mov_b32 s23, s0
	v_pk_mul_f32 v[14:15], v[58:59], s[24:25] op_sel_hi:[0,1]
	v_pk_fma_f32 v[62:63], v[54:55], s[26:27], v[8:9] op_sel:[1,0,0]
	v_pk_add_f32 v[0:1], v[10:11], v[0:1]
	v_pk_fma_f32 v[10:11], v[12:13], s[22:23], v[14:15] op_sel_hi:[0,1,1]
	s_mov_b32 s24, s0
	s_mov_b32 s25, s12
	v_pk_add_f32 v[62:63], v[62:63], v[18:19] op_sel_hi:[1,0]
	s_mov_b32 s17, 0x3eedf032
	v_pk_add_f32 v[10:11], v[10:11], v[62:63]
	v_pk_fma_f32 v[62:63], v[50:51], s[24:25], v[60:61] op_sel:[1,0,0]
	s_mov_b32 s16, 0x3f29c268
	s_mov_b32 s4, s1
	v_pk_add_f32 v[10:11], v[62:63], v[10:11]
	v_pk_mul_f32 v[62:63], v[52:53], s[16:17] op_sel_hi:[0,1]
	v_pk_fma_f32 v[8:9], v[54:55], s[26:27], v[8:9] op_sel:[1,0,0] neg_lo:[0,0,1] neg_hi:[0,0,1]
	v_pk_fma_f32 v[64:65], v[50:51], s[4:5], v[62:63] op_sel_hi:[0,1,1]
	s_mov_b32 s28, 0x3f7e222b
	s_mov_b32 s29, s18
	v_pk_fma_f32 v[14:15], v[12:13], s[22:23], v[14:15] op_sel_hi:[0,1,1] neg_lo:[0,0,1] neg_hi:[0,0,1]
	v_pk_add_f32 v[8:9], v[8:9], v[18:19] op_sel_hi:[1,0]
	v_pk_add_f32 v[10:11], v[64:65], v[10:11]
	s_mov_b32 s10, s13
	v_pk_mul_f32 v[64:65], v[20:21], s[28:29] op_sel:[1,0]
	v_pk_add_f32 v[8:9], v[14:15], v[8:9]
	v_pk_fma_f32 v[14:15], v[50:51], s[24:25], v[60:61] op_sel:[1,0,0] neg_lo:[0,0,1] neg_hi:[0,0,1]
	v_pk_fma_f32 v[66:67], v[16:17], s[10:11], v[64:65] op_sel:[1,0,0]
	s_mov_b32 s20, s17
	v_pk_add_f32 v[8:9], v[14:15], v[8:9]
	v_pk_fma_f32 v[14:15], v[50:51], s[4:5], v[62:63] op_sel_hi:[0,1,1] neg_lo:[0,0,1] neg_hi:[0,0,1]
	v_pk_add_f32 v[10:11], v[66:67], v[10:11]
	s_mov_b32 s30, s5
	s_mov_b32 s31, s1
	v_pk_mul_f32 v[66:67], v[20:21], s[20:21] op_sel_hi:[0,1]
	v_pk_fma_f32 v[60:61], v[16:17], s[10:11], v[64:65] op_sel:[1,0,0] neg_lo:[0,0,1] neg_hi:[0,0,1]
	v_pk_add_f32 v[8:9], v[14:15], v[8:9]
	s_mov_b32 s20, s14
	s_mov_b32 s22, s16
	;; [unrolled: 1-line block ×3, first 2 shown]
	v_pk_add_f32 v[8:9], v[60:61], v[8:9]
	v_pk_fma_f32 v[14:15], v[16:17], s[30:31], v[66:67] op_sel_hi:[0,1,1] neg_lo:[0,0,1] neg_hi:[0,0,1]
	v_pk_mul_f32 v[60:61], v[58:59], s[20:21] op_sel:[1,0]
	s_mov_b32 s21, s13
	v_pk_mul_f32 v[62:63], v[58:59], s[22:23] op_sel_hi:[0,1]
	s_mov_b32 s22, s13
	s_mov_b32 s13, s1
	v_pk_add_f32 v[8:9], v[14:15], v[8:9]
	s_mov_b32 s20, s1
	v_pk_fma_f32 v[14:15], v[54:55], s[12:13], v[60:61] op_sel:[1,0,0]
	v_pk_fma_f32 v[64:65], v[12:13], s[20:21], v[62:63] op_sel_hi:[0,1,1]
	v_pk_add_f32 v[14:15], v[14:15], v[18:19] op_sel_hi:[1,0]
	s_mov_b32 s24, s17
	s_mov_b32 s25, s18
	v_pk_add_f32 v[14:15], v[64:65], v[14:15]
	s_mov_b32 s10, s5
	v_pk_mul_f32 v[64:65], v[52:53], s[24:25] op_sel:[1,0]
	v_pk_fma_f32 v[68:69], v[16:17], s[30:31], v[66:67] op_sel_hi:[0,1,1]
	v_pk_fma_f32 v[66:67], v[50:51], s[10:11], v[64:65] op_sel:[1,0,0]
	s_mov_b32 s19, 0x3e750f2a
	s_mov_b32 s18, s15
	v_pk_add_f32 v[14:15], v[66:67], v[14:15]
	s_mov_b32 s23, s0
	v_pk_mul_f32 v[66:67], v[52:53], s[18:19] op_sel_hi:[0,1]
	v_pk_fma_f32 v[60:61], v[54:55], s[12:13], v[60:61] op_sel:[1,0,0] neg_lo:[0,0,1] neg_hi:[0,0,1]
	v_pk_add_f32 v[10:11], v[68:69], v[10:11]
	v_pk_fma_f32 v[68:69], v[50:51], s[22:23], v[66:67] op_sel_hi:[0,1,1]
	s_mov_b32 s16, s19
	v_pk_fma_f32 v[62:63], v[12:13], s[20:21], v[62:63] op_sel_hi:[0,1,1] neg_lo:[0,0,1] neg_hi:[0,0,1]
	v_pk_add_f32 v[60:61], v[60:61], v[18:19] op_sel_hi:[1,0]
	v_pk_add_f32 v[14:15], v[68:69], v[14:15]
	s_mov_b32 s4, s0
	v_pk_mul_f32 v[68:69], v[20:21], s[16:17] op_sel:[1,0]
	v_pk_add_f32 v[60:61], v[62:63], v[60:61]
	v_pk_fma_f32 v[62:63], v[50:51], s[10:11], v[64:65] op_sel:[1,0,0] neg_lo:[0,0,1] neg_hi:[0,0,1]
	v_pk_fma_f32 v[70:71], v[16:17], s[4:5], v[68:69] op_sel:[1,0,0]
	s_mov_b32 s16, 0x3f52af12
	s_mov_b32 s17, s14
	v_pk_add_f32 v[60:61], v[62:63], v[60:61]
	v_pk_fma_f32 v[62:63], v[50:51], s[22:23], v[66:67] op_sel_hi:[0,1,1] neg_lo:[0,0,1] neg_hi:[0,0,1]
	v_pk_add_f32 v[14:15], v[70:71], v[14:15]
	s_mov_b32 s18, s11
	s_mov_b32 s19, s12
	v_pk_mul_f32 v[70:71], v[20:21], s[16:17] op_sel_hi:[0,1]
	v_pk_add_f32 v[60:61], v[62:63], v[60:61]
	v_pk_fma_f32 v[62:63], v[16:17], s[4:5], v[68:69] op_sel:[1,0,0] neg_lo:[0,0,1] neg_hi:[0,0,1]
	v_mul_f32_e32 v32, 0x3f62ad3f, v12
	v_pk_add_f32 v[60:61], v[62:63], v[60:61]
	v_pk_fma_f32 v[12:13], v[16:17], s[18:19], v[70:71] op_sel_hi:[0,1,1] neg_lo:[0,0,1] neg_hi:[0,0,1]
	v_mul_f32_e32 v54, 0x3eedf032, v58
	v_pk_add_f32 v[12:13], v[12:13], v[60:61]
	v_pk_add_f32 v[60:61], v[32:33], v[54:55]
	v_pk_add_f32 v[62:63], v[32:33], v[54:55] neg_lo:[0,1] neg_hi:[0,1]
	v_mul_f32_e32 v32, 0xbf3f9e67, v51
	v_mul_f32_e32 v54, 0xbf29c268, v53
	v_mov_b32_e32 v61, v62
	v_pk_add_f32 v[62:63], v[32:33], v[54:55]
	v_pk_add_f32 v[64:65], v[32:33], v[54:55] neg_lo:[0,1] neg_hi:[0,1]
	v_mul_f32_e32 v32, 0x3f116cb1, v50
	v_mul_f32_e32 v50, 0x3f52af12, v52
	v_pk_add_f32 v[52:53], v[32:33], v[50:51]
	v_pk_add_f32 v[50:51], v[32:33], v[50:51] neg_lo:[0,1] neg_hi:[0,1]
	v_mul_f32_e32 v32, 0xbeb58ec6, v17
	v_mov_b32_e32 v53, v50
	v_mul_f32_e32 v50, 0xbf6f5d39, v21
	v_mov_b32_e32 v63, v64
	v_pk_add_f32 v[64:65], v[32:33], v[50:51]
	v_pk_add_f32 v[50:51], v[32:33], v[50:51] neg_lo:[0,1] neg_hi:[0,1]
	v_mul_f32_e32 v32, 0xbe750f2a, v59
	v_mov_b32_e32 v65, v50
	v_mul_f32_e32 v50, 0xbf788fa5, v55
	v_pk_add_f32 v[54:55], v[50:51], v[32:33]
	v_pk_add_f32 v[50:51], v[50:51], v[32:33] neg_lo:[0,1] neg_hi:[0,1]
	v_mul_u32_u24_e32 v32, 0xd0, v34
	v_pk_fma_f32 v[34:35], v[16:17], s[0:1], v[56:57] neg_lo:[0,0,1] neg_hi:[0,0,1]
	v_mov_b32_e32 v55, v50
	v_add_f32_e32 v5, v35, v5
	v_pk_fma_f32 v[72:73], v[16:17], s[18:19], v[70:71] op_sel_hi:[0,1,1]
	v_add_f32_e32 v17, v34, v5
	v_pk_add_f32 v[34:35], v[54:55], v[18:19] op_sel_hi:[1,0]
	s_load_dwordx2 s[4:5], s[2:3], 0x0
	v_pk_add_f32 v[34:35], v[60:61], v[34:35]
	v_mul_f32_e32 v16, 0x3df6dbef, v16
	v_mul_f32_e32 v20, 0x3f7e222b, v20
	v_pk_add_f32 v[34:35], v[62:63], v[34:35]
	v_pk_add_f32 v[50:51], v[16:17], v[20:21]
	;; [unrolled: 1-line block ×3, first 2 shown]
	v_pk_add_f32 v[20:21], v[16:17], v[20:21] neg_lo:[0,1] neg_hi:[0,1]
	v_pk_add_f32 v[34:35], v[64:65], v[34:35]
	v_mov_b32_e32 v51, v20
	v_mad_u32_u24 v16, v4, 52, 0
	v_pk_add_f32 v[14:15], v[72:73], v[14:15]
	v_pk_add_f32 v[20:21], v[50:51], v[34:35]
	v_lshl_add_u32 v5, v32, 2, v16
	v_cmp_gt_u32_e64 s[0:1], 13, v4
	v_cmp_lt_u32_e64 s[2:3], 12, v4
	ds_write2_b32 v5, v0, v1 offset1:1
	ds_write2_b32 v5, v10, v11 offset0:2 offset1:3
	ds_write2_b32 v5, v14, v15 offset0:4 offset1:5
	;; [unrolled: 1-line block ×5, first 2 shown]
	ds_write_b32 v5, v17 offset:48
	s_waitcnt lgkmcnt(0)
	; wave barrier
	s_waitcnt lgkmcnt(0)
	s_and_saveexec_b64 s[10:11], s[2:3]
	s_xor_b64 s[10:11], exec, s[10:11]
; %bb.14:
                                        ; implicit-def: $vgpr16
; %bb.15:
	s_or_saveexec_b64 s[10:11], s[10:11]
	v_lshlrev_b32_e32 v50, 2, v32
	v_lshlrev_b32_e32 v51, 2, v4
                                        ; implicit-def: $vgpr34
                                        ; implicit-def: $vgpr32
	s_xor_b64 exec, exec, s[10:11]
	s_cbranch_execz .LBB0_17
; %bb.16:
	v_mul_i32_i24_e32 v1, 0xffffffd0, v4
	v_add3_u32 v0, 0, v50, v51
	v_add3_u32 v1, v16, v1, v50
	ds_read2_b32 v[10:11], v1 offset0:13 offset1:26
	ds_read2_b32 v[14:15], v1 offset0:39 offset1:52
	;; [unrolled: 1-line block ×7, first 2 shown]
	ds_read_b32 v0, v0
	ds_read_b32 v32, v1 offset:780
	s_waitcnt lgkmcnt(8)
	v_mov_b32_e32 v1, v10
	v_mov_b32_e32 v10, v11
	s_waitcnt lgkmcnt(7)
	v_mov_b32_e32 v11, v14
	v_mov_b32_e32 v14, v15
	;; [unrolled: 3-line block ×3, first 2 shown]
	s_waitcnt lgkmcnt(5)
	v_mov_b32_e32 v21, v12
	s_waitcnt lgkmcnt(4)
	v_mov_b32_e32 v12, v8
	;; [unrolled: 2-line block ×3, first 2 shown]
.LBB0_17:
	s_or_b64 exec, exec, s[10:11]
	v_add_f32_e32 v16, v43, v19
	v_pk_add_f32 v[56:57], v[44:45], v[36:37]
	v_pk_add_f32 v[48:49], v[48:49], v[46:47] neg_lo:[0,1] neg_hi:[0,1]
	v_add_f32_e32 v16, v41, v16
	v_mov_b32_e32 v46, v57
	v_mov_b32_e32 v47, v49
	s_mov_b32 s17, 0xbf52af12
	s_mov_b32 s16, 0x3f116cb1
	v_add_f32_e32 v52, v45, v16
	v_pk_mul_f32 v[44:45], v[46:47], s[16:17]
	s_mov_b32 s14, 0xbf788fa5
	v_mov_b32_e32 v16, v41
	v_mov_b32_e32 v41, v44
	;; [unrolled: 1-line block ×4, first 2 shown]
	s_mov_b32 s15, 0x3e750f2a
	v_pk_fma_f32 v[58:59], v[46:47], s[16:17], v[40:41]
	v_pk_mul_f32 v[46:47], v[62:63], s[14:15]
	v_pk_add_f32 v[54:55], v[16:17], v[22:23]
	v_mov_b32_e32 v41, v46
	v_pk_fma_f32 v[62:63], v[62:63], s[14:15], v[40:41]
	v_mov_b32_e32 v41, v33
	v_mov_b32_e32 v53, v23
	v_pk_add_f32 v[38:39], v[40:41], v[38:39] neg_lo:[0,1] neg_hi:[0,1]
	s_mov_b32 s11, 0xbf3f9e67
	s_mov_b32 s10, s16
	v_pk_add_f32 v[52:53], v[42:43], v[52:53]
	v_mov_b32_e32 v16, v25
	v_mov_b32_e32 v40, v54
	;; [unrolled: 1-line block ×3, first 2 shown]
	s_mov_b32 s25, 0x3f7e222b
	s_mov_b32 s24, 0x3df6dbef
	v_pk_add_f32 v[66:67], v[16:17], v[52:53]
	v_pk_mul_f32 v[42:43], v[52:53], s[10:11]
	v_pk_mul_f32 v[70:71], v[40:41], s[24:25]
	v_mov_b32_e32 v67, v43
	v_mov_b32_e32 v58, v36
	;; [unrolled: 1-line block ×3, first 2 shown]
	v_mul_f32_e32 v37, 0xbf29c268, v39
	v_mov_b32_e32 v33, v70
	v_mov_b32_e32 v36, v24
	;; [unrolled: 1-line block ×4, first 2 shown]
	s_waitcnt lgkmcnt(0)
	v_pk_fma_f32 v[40:41], v[40:41], s[24:25], v[32:33]
	v_pk_add_f32 v[66:67], v[36:37], v[66:67]
	s_mov_b32 s22, 0x3eedf032
	v_pk_add_f32 v[66:67], v[68:69], v[66:67]
	v_mov_b32_e32 v40, v27
	s_mov_b32 s23, 0xbe750f2a
	v_pk_add_f32 v[40:41], v[40:41], v[66:67]
	s_mov_b32 s12, 0x3f52af12
	v_pk_mul_f32 v[72:73], v[38:39], s[22:23]
	v_mov_b32_e32 v74, v54
	v_mov_b32_e32 v75, v53
	s_mov_b32 s20, 0x3f62ad3f
	s_mov_b32 s21, s14
	v_pk_add_f32 v[40:41], v[58:59], v[40:41]
	s_mov_b32 s13, 0xbf29c268
	v_pk_add_f32 v[40:41], v[62:63], v[40:41]
	v_pk_fma_f32 v[62:63], v[74:75], s[20:21], v[72:73]
	v_pk_mul_f32 v[60:61], v[48:49], s[12:13]
	v_pk_fma_f32 v[58:59], v[74:75], s[20:21], v[72:73] neg_lo:[0,0,1] neg_hi:[0,0,1]
	v_add_f32_e32 v33, v63, v19
	v_pk_fma_f32 v[64:65], v[56:57], s[10:11], v[60:61] neg_lo:[0,0,1] neg_hi:[0,0,1]
	v_pk_fma_f32 v[60:61], v[56:57], s[10:11], v[60:61]
	v_add_f32_e32 v16, v59, v19
	v_add_f32_e32 v33, v62, v33
	;; [unrolled: 1-line block ×6, first 2 shown]
	v_mov_b32_e32 v60, v25
	v_mov_b32_e32 v61, v29
	;; [unrolled: 1-line block ×4, first 2 shown]
	v_add_f32_e32 v36, v64, v16
	v_pk_add_f32 v[64:65], v[60:61], v[62:63]
	v_pk_add_f32 v[60:61], v[60:61], v[62:63] neg_lo:[0,1] neg_hi:[0,1]
	v_mov_b32_e32 v62, v64
	v_mov_b32_e32 v63, v61
	s_mov_b32 s18, s20
	s_mov_b32 s19, s22
	v_pk_mul_f32 v[66:67], v[62:63], s[18:19]
	s_mov_b32 s31, s17
	v_mov_b32_e32 v25, v66
	v_pk_fma_f32 v[68:69], v[62:63], s[18:19], v[24:25]
	s_mov_b32 s18, 0xbeb58ec6
	v_mov_b32_e32 v68, v22
	s_mov_b32 s19, 0xbf6f5d39
	v_pk_add_f32 v[40:41], v[68:69], v[40:41]
	v_pk_mul_f32 v[68:69], v[62:63], s[18:19]
	s_mov_b32 s30, s19
	v_mov_b32_e32 v16, v69
	s_mov_b32 s28, s18
	s_mov_b32 s29, s16
	v_pk_mul_f32 v[74:75], v[38:39], s[30:31] op_sel_hi:[0,1]
	s_mov_b32 s31, 0xbf7e222b
	s_mov_b32 s30, s23
	v_pk_fma_f32 v[72:73], v[62:63], s[18:19], v[16:17] neg_lo:[0,0,1] neg_hi:[0,0,1]
	v_fma_f32 v16, v54, s16, -v75
	v_pk_fma_f32 v[74:75], v[54:55], s[28:29], v[74:75] op_sel_hi:[0,1,1]
	s_mov_b32 s28, s14
	s_mov_b32 s29, s24
	v_pk_mul_f32 v[76:77], v[48:49], s[30:31] op_sel:[1,0]
	v_mov_b32_e32 v25, v68
	v_fma_f32 v22, v57, s24, -v77
	v_pk_fma_f32 v[76:77], v[56:57], s[28:29], v[76:77] op_sel:[1,0,0]
	s_mov_b32 s28, 0x3f29c268
	s_mov_b32 s29, s19
	s_mov_b32 s34, s11
	s_mov_b32 s35, s18
	v_pk_mul_f32 v[78:79], v[48:49], s[28:29] op_sel_hi:[0,1]
	s_mov_b32 s36, s25
	s_mov_b32 s37, s13
	v_pk_fma_f32 v[62:63], v[62:63], s[18:19], v[24:25]
	s_mov_b32 s27, 0xbeedf032
	s_mov_b32 s26, s17
	v_fma_f32 v25, v56, s18, -v79
	v_pk_fma_f32 v[78:79], v[56:57], s[34:35], v[78:79] op_sel_hi:[0,1,1]
	s_mov_b32 s34, s24
	s_mov_b32 s35, s11
	v_pk_mul_f32 v[80:81], v[60:61], s[36:37] op_sel:[1,0]
	v_pk_mul_f32 v[68:69], v[38:39], s[26:27] op_sel:[1,0]
	v_fma_f32 v27, v64, s11, -v81
	v_pk_fma_f32 v[80:81], v[64:65], s[34:35], v[80:81] op_sel_hi:[0,1,1]
	s_mov_b32 s34, s16
	s_mov_b32 s35, s20
	v_fma_f32 v29, v53, s20, -v69
	v_pk_fma_f32 v[68:69], v[52:53], s[34:35], v[68:69] op_sel:[1,0,0]
	s_mov_b32 s30, s19
	v_pk_add_f32 v[68:69], v[68:69], v[18:19] op_sel:[0,1]
	s_mov_b32 s40, s31
	v_pk_add_f32 v[68:69], v[74:75], v[68:69]
	s_mov_b32 s41, s22
	v_pk_add_f32 v[68:69], v[76:77], v[68:69]
	v_pk_mul_f32 v[74:75], v[38:39], s[30:31] op_sel:[1,0]
	s_mov_b32 s29, s23
	v_pk_mul_f32 v[86:87], v[48:49], s[40:41] op_sel_hi:[0,1]
	s_mov_b32 s40, s18
	s_mov_b32 s41, s24
	v_pk_add_f32 v[68:69], v[78:79], v[68:69]
	s_mov_b32 s34, s11
	s_mov_b32 s35, s14
	v_pk_mul_f32 v[78:79], v[38:39], s[28:29] op_sel_hi:[0,1]
	s_mov_b32 s37, 0x3f6f5d39
	s_mov_b32 s36, s22
	v_pk_fma_f32 v[88:89], v[52:53], s[40:41], v[74:75] op_sel:[1,0,0]
	v_pk_add_f32 v[68:69], v[80:81], v[68:69]
	v_pk_mul_f32 v[76:77], v[54:55], s[34:35] op_sel_hi:[0,1]
	v_pk_fma_f32 v[80:81], v[54:55], s[34:35], v[78:79] op_sel_hi:[0,1,1]
	s_mov_b32 s34, s20
	s_mov_b32 s35, s18
	v_pk_mul_f32 v[82:83], v[48:49], s[36:37] op_sel:[1,0]
	v_pk_add_f32 v[88:89], v[88:89], v[18:19] op_sel:[0,1]
	v_pk_fma_f32 v[84:85], v[56:57], s[34:35], v[82:83] op_sel:[1,0,0]
	s_mov_b32 s38, s24
	s_mov_b32 s39, s20
	v_pk_add_f32 v[80:81], v[80:81], v[88:89]
	s_mov_b32 s44, s15
	s_mov_b32 s45, s17
	v_pk_fma_f32 v[88:89], v[56:57], s[38:39], v[86:87] op_sel_hi:[0,1,1]
	s_mov_b32 s42, s14
	s_mov_b32 s43, s16
	v_pk_add_f32 v[80:81], v[84:85], v[80:81]
	v_pk_mul_f32 v[84:85], v[60:61], s[44:45] op_sel:[1,0]
	v_pk_add_f32 v[80:81], v[88:89], v[80:81]
	v_pk_fma_f32 v[88:89], v[64:65], s[42:43], v[84:85] op_sel_hi:[0,1,1]
	s_mov_b32 s36, s37
	s_mov_b32 s37, s15
	v_pk_add_f32 v[80:81], v[88:89], v[80:81]
	s_mov_b32 s44, s18
	s_mov_b32 s45, s14
	v_pk_mul_f32 v[88:89], v[38:39], s[36:37] op_sel_hi:[0,1]
	v_pk_fma_f32 v[54:55], v[54:55], s[44:45], v[88:89] op_sel_hi:[0,1,1]
	s_mov_b32 s44, s24
	s_mov_b32 s17, s24
	;; [unrolled: 1-line block ×3, first 2 shown]
	v_add_f32_e32 v29, v29, v19
	v_pk_mul_f32 v[38:39], v[38:39], s[24:25] op_sel:[1,0]
	v_add_f32_e32 v16, v16, v29
	v_pk_fma_f32 v[38:39], v[52:53], s[16:17], v[38:39] op_sel:[1,0,0]
	v_add_f32_e32 v16, v22, v16
	s_mov_b32 s36, s15
	s_mov_b32 s37, s19
	v_pk_add_f32 v[38:39], v[38:39], v[18:19] op_sel:[0,1]
	v_add_f32_e32 v16, v25, v16
	v_pk_mul_f32 v[88:89], v[56:57], s[34:35] op_sel:[1,0]
	s_mov_b32 s34, s14
	v_pk_add_f32 v[38:39], v[54:55], v[38:39]
	v_pk_mul_f32 v[54:55], v[48:49], s[36:37] op_sel:[1,0]
	s_mov_b32 s26, s13
	v_add_f32_e32 v16, v27, v16
	v_pk_fma_f32 v[54:55], v[56:57], s[34:35], v[54:55] op_sel:[1,0,0]
	s_mov_b32 s24, s11
	s_mov_b32 s25, s20
	v_pk_mul_f32 v[48:49], v[48:49], s[26:27] op_sel_hi:[0,1]
	v_mov_b32_e32 v25, v28
	v_mov_b32_e32 v27, v30
	v_pk_fma_f32 v[48:49], v[56:57], s[24:25], v[48:49] op_sel_hi:[0,1,1]
	v_pk_add_f32 v[38:39], v[54:55], v[38:39]
	v_pk_add_f32 v[54:55], v[24:25], v[26:27] neg_lo:[0,1] neg_hi:[0,1]
	v_pk_mul_f32 v[52:53], v[52:53], s[40:41] op_sel:[1,0]
	v_pk_add_f32 v[38:39], v[48:49], v[38:39]
	v_pk_add_f32 v[48:49], v[24:25], v[26:27]
	v_pk_mul_f32 v[24:25], v[54:55], s[22:23] op_sel:[1,0]
	s_mov_b32 s45, s16
	s_mov_b32 s16, s31
	s_mov_b32 s17, s12
	v_fma_f32 v22, v48, s14, -v25
	v_pk_fma_f32 v[24:25], v[48:49], s[20:21], v[24:25] op_sel_hi:[0,1,1]
	v_mov_b32_e32 v53, v43
	v_mov_b32_e32 v75, v37
	v_pk_mul_f32 v[60:61], v[60:61], s[16:17] op_sel:[1,0]
	v_pk_add_f32 v[26:27], v[24:25], v[68:69]
	v_pk_mul_f32 v[68:69], v[54:55], s[12:13] op_sel:[1,0]
	s_mov_b32 s12, s27
	s_mov_b32 s13, s28
	v_mov_b32_e32 v77, v70
	v_mov_b32_e32 v79, v71
	v_pk_add_f32 v[42:43], v[52:53], v[74:75] neg_lo:[0,1] neg_hi:[0,1]
	v_pk_mul_f32 v[56:57], v[56:57], s[38:39] op_sel_hi:[0,1]
	v_pk_fma_f32 v[60:61], v[64:65], s[44:45], v[60:61] op_sel_hi:[0,1,1]
	s_mov_b32 s21, s11
	v_pk_mul_f32 v[24:25], v[54:55], s[12:13] op_sel:[1,0]
	v_pk_add_f32 v[70:71], v[76:77], v[78:79] neg_lo:[0,1] neg_hi:[0,1]
	v_mov_b32_e32 v89, v44
	v_mov_b32_e32 v83, v45
	v_pk_add_f32 v[18:19], v[42:43], v[18:19] op_sel:[0,1]
	v_pk_mul_f32 v[64:65], v[64:65], s[42:43] op_sel_hi:[0,1]
	v_pk_add_f32 v[38:39], v[60:61], v[38:39]
	v_mov_b32_e32 v60, v48
	v_mov_b32_e32 v61, v55
	v_pk_fma_f32 v[24:25], v[48:49], s[20:21], v[24:25] op_sel_hi:[0,1,1]
	v_pk_add_f32 v[44:45], v[88:89], v[82:83] neg_lo:[0,1] neg_hi:[0,1]
	v_mov_b32_e32 v57, v46
	v_mov_b32_e32 v87, v47
	v_pk_add_f32 v[18:19], v[70:71], v[18:19]
	v_pk_mul_f32 v[30:31], v[48:49], s[10:11] op_sel_hi:[0,1]
	v_pk_add_f32 v[28:29], v[24:25], v[38:39]
	v_pk_mul_f32 v[38:39], v[60:61], s[18:19]
	v_pk_add_f32 v[46:47], v[56:57], v[86:87] neg_lo:[0,1] neg_hi:[0,1]
	v_mov_b32_e32 v65, v66
	v_mov_b32_e32 v85, v67
	v_pk_add_f32 v[18:19], v[44:45], v[18:19]
	v_pk_fma_f32 v[24:25], v[48:49], s[10:11], v[68:69] op_sel_hi:[0,1,1]
	v_pk_add_f32 v[56:57], v[64:65], v[84:85] neg_lo:[0,1] neg_hi:[0,1]
	v_pk_add_f32 v[18:19], v[46:47], v[18:19]
	v_mov_b32_e32 v31, v38
	v_mov_b32_e32 v69, v39
	v_pk_add_f32 v[18:19], v[56:57], v[18:19]
	v_pk_add_f32 v[30:31], v[30:31], v[68:69] neg_lo:[0,1] neg_hi:[0,1]
	v_mul_f32_e32 v58, 0x3df6dbef, v48
	v_pk_add_f32 v[30:31], v[30:31], v[18:19]
	v_mov_b32_e32 v19, v38
	v_pk_fma_f32 v[18:19], v[60:61], s[18:19], v[18:19]
	v_mul_f32_e32 v38, 0x3f7e222b, v55
	v_mov_b32_e32 v18, v23
	v_mov_b32_e32 v39, v63
	v_pk_add_f32 v[18:19], v[18:19], v[40:41]
	v_pk_add_f32 v[40:41], v[58:59], v[62:63]
	v_pk_add_f32 v[42:43], v[58:59], v[38:39] neg_lo:[0,1] neg_hi:[0,1]
	v_mov_b32_e32 v37, v58
	v_mov_b32_e32 v73, v38
	;; [unrolled: 1-line block ×3, first 2 shown]
	v_pk_add_f32 v[36:37], v[36:37], v[72:73]
	v_add_f32_e32 v22, v22, v16
	v_pk_add_f32 v[24:25], v[24:25], v[80:81]
	v_pk_add_f32 v[36:37], v[36:37], v[42:43]
	s_waitcnt lgkmcnt(0)
	; wave barrier
	ds_write2_b32 v5, v18, v22 offset1:1
	ds_write2_b32 v5, v28, v29 offset0:2 offset1:3
	ds_write2_b32 v5, v30, v31 offset0:4 offset1:5
	;; [unrolled: 1-line block ×4, first 2 shown]
	v_mov_b32_e32 v16, v25
	v_mov_b32_e32 v23, v26
	ds_write2_b32 v5, v25, v26 offset0:10 offset1:11
	ds_write_b32 v5, v27 offset:48
	s_waitcnt lgkmcnt(0)
	; wave barrier
	s_waitcnt lgkmcnt(0)
	s_and_saveexec_b64 s[10:11], s[2:3]
	s_xor_b64 s[2:3], exec, s[10:11]
; %bb.18:
                                        ; implicit-def: $vgpr50
                                        ; implicit-def: $vgpr51
; %bb.19:
	s_or_saveexec_b64 s[2:3], s[2:3]
                                        ; implicit-def: $vgpr38
                                        ; implicit-def: $vgpr16
	s_xor_b64 exec, exec, s[2:3]
	s_cbranch_execz .LBB0_21
; %bb.20:
	v_add3_u32 v16, 0, v51, v50
	v_add3_u32 v5, 0, v50, v51
	ds_read2_b32 v[22:23], v16 offset0:13 offset1:26
	ds_read2_b32 v[40:41], v16 offset0:39 offset1:52
	;; [unrolled: 1-line block ×7, first 2 shown]
	ds_read_b32 v18, v5
	ds_read_b32 v16, v16 offset:780
	s_waitcnt lgkmcnt(5)
	v_mov_b32_e32 v19, v31
	v_mov_b32_e32 v36, v29
	;; [unrolled: 1-line block ×7, first 2 shown]
.LBB0_21:
	s_or_b64 exec, exec, s[2:3]
	v_cmp_gt_u32_e64 s[2:3], 13, v4
	s_and_b64 s[2:3], vcc, s[2:3]
	s_and_saveexec_b64 s[10:11], s[2:3]
	s_cbranch_execz .LBB0_23
; %bb.22:
	v_add_u32_e32 v5, -13, v4
	v_cndmask_b32_e64 v5, v5, v4, s[0:1]
	v_mul_i32_i24_e32 v52, 15, v5
	v_mov_b32_e32 v53, 0
	v_lshl_add_u64 v[60:61], v[52:53], 3, s[8:9]
	global_load_dwordx4 v[40:43], v[60:61], off offset:96
	global_load_dwordx4 v[44:47], v[60:61], off offset:48
	v_mul_lo_u32 v5, s5, v6
	v_mul_lo_u32 v23, s4, v7
	v_mad_u64_u32 v[6:7], s[0:1], s4, v6, 0
	global_load_dwordx4 v[48:51], v[60:61], off offset:32
	global_load_dwordx2 v[68:69], v[60:61], off offset:112
	s_waitcnt lgkmcnt(2)
	v_mov_b32_e32 v62, v39
	v_add3_u32 v7, v7, v23, v5
	v_mov_b32_e32 v5, v53
	global_load_dwordx4 v[52:55], v[60:61], off offset:80
	global_load_dwordx4 v[56:59], v[60:61], off offset:16
	v_mov_b32_e32 v64, v35
	v_mov_b32_e32 v66, v35
	v_lshl_add_u64 v[6:7], v[6:7], 3, s[6:7]
	v_lshl_add_u64 v[2:3], v[2:3], 3, v[6:7]
	v_mov_b32_e32 v6, v17
	v_lshl_add_u64 v[2:3], v[4:5], 3, v[2:3]
	s_mov_b32 s0, 0x3f3504f3
	s_mov_b32 s2, 0x3ec3ef15
	;; [unrolled: 1-line block ×3, first 2 shown]
	s_waitcnt vmcnt(5)
	v_pk_mul_f32 v[62:63], v[62:63], v[42:43] op_sel_hi:[0,1]
	v_pk_mul_f32 v[38:39], v[38:39], v[40:41] op_sel_hi:[0,1]
	s_waitcnt vmcnt(4)
	v_pk_mul_f32 v[72:73], v[36:37], v[44:45] op_sel:[1,0]
	v_pk_fma_f32 v[64:65], v[64:65], v[42:43], v[62:63] op_sel:[0,0,1] op_sel_hi:[1,1,0]
	v_pk_fma_f32 v[62:63], v[66:67], v[42:43], v[62:63] op_sel:[0,0,1] op_sel_hi:[0,1,0] neg_lo:[1,0,0] neg_hi:[1,0,0]
	v_pk_fma_f32 v[66:67], v[34:35], v[40:41], v[38:39] op_sel:[0,0,1] op_sel_hi:[1,1,0]
	v_pk_fma_f32 v[34:35], v[34:35], v[40:41], v[38:39] op_sel:[0,0,1] op_sel_hi:[0,1,0] neg_lo:[1,0,0] neg_hi:[1,0,0]
	;; [unrolled: 2-line block ×3, first 2 shown]
	global_load_dwordx4 v[38:41], v[60:61], off
	global_load_dwordx4 v[42:45], v[60:61], off offset:64
	v_mov_b32_e32 v34, v17
	s_waitcnt vmcnt(4) lgkmcnt(0)
	v_pk_mul_f32 v[16:17], v[16:17], v[68:69] op_sel_hi:[0,1]
	v_pk_mul_f32 v[4:5], v[36:37], v[50:51] op_sel_hi:[0,1]
	v_pk_fma_f32 v[36:37], v[32:33], v[68:69], v[16:17] op_sel:[0,0,1] op_sel_hi:[1,1,0]
	v_pk_fma_f32 v[16:17], v[32:33], v[68:69], v[16:17] op_sel:[0,0,1] op_sel_hi:[0,1,0] neg_lo:[1,0,0] neg_hi:[1,0,0]
	s_waitcnt vmcnt(2)
	v_pk_mul_f32 v[32:33], v[30:31], v[58:59] op_sel_hi:[0,1]
	v_pk_mul_f32 v[30:31], v[30:31], v[48:49] op_sel:[1,0]
	v_pk_fma_f32 v[60:61], v[20:21], v[50:51], v[4:5] op_sel:[0,0,1] op_sel_hi:[1,1,0]
	v_pk_fma_f32 v[4:5], v[20:21], v[50:51], v[4:5] op_sel:[0,0,1] op_sel_hi:[0,1,0] neg_lo:[1,0,0] neg_hi:[1,0,0]
	v_pk_fma_f32 v[20:21], v[14:15], v[48:49], v[30:31] op_sel:[1,0,1] op_sel_hi:[1,1,0]
	v_pk_fma_f32 v[30:31], v[14:15], v[48:49], v[30:31] op_sel:[1,0,1] op_sel_hi:[1,1,0] neg_lo:[1,0,0] neg_hi:[1,0,0]
	v_pk_mul_f32 v[48:49], v[28:29], v[56:57] op_sel:[1,0]
	v_pk_fma_f32 v[50:51], v[14:15], v[58:59], v[32:33] op_sel:[0,0,1] op_sel_hi:[1,1,0]
	v_pk_fma_f32 v[14:15], v[14:15], v[58:59], v[32:33] op_sel:[0,0,1] op_sel_hi:[0,1,0] neg_lo:[1,0,0] neg_hi:[1,0,0]
	v_pk_fma_f32 v[32:33], v[10:11], v[56:57], v[48:49] op_sel:[1,0,1] op_sel_hi:[1,1,0]
	v_pk_fma_f32 v[48:49], v[10:11], v[56:57], v[48:49] op_sel:[1,0,1] op_sel_hi:[1,1,0] neg_lo:[1,0,0] neg_hi:[1,0,0]
	v_pk_mul_f32 v[56:57], v[26:27], v[54:55] op_sel:[1,0]
	v_pk_mul_f32 v[26:27], v[26:27], v[52:53] op_sel_hi:[0,1]
	v_pk_fma_f32 v[6:7], v[6:7], v[54:55], v[56:57] op_sel:[0,0,1] op_sel_hi:[1,1,0]
	v_pk_fma_f32 v[54:55], v[34:35], v[54:55], v[56:57] op_sel:[0,0,1] op_sel_hi:[0,1,0] neg_lo:[1,0,0] neg_hi:[1,0,0]
	v_pk_fma_f32 v[56:57], v[8:9], v[52:53], v[26:27] op_sel:[0,0,1] op_sel_hi:[1,1,0]
	v_pk_fma_f32 v[26:27], v[8:9], v[52:53], v[26:27] op_sel:[0,0,1] op_sel_hi:[0,1,0] neg_lo:[1,0,0] neg_hi:[1,0,0]
	v_pk_mul_f32 v[70:71], v[18:19], v[46:47] op_sel:[1,0]
	v_mov_b32_e32 v19, v18
	v_mov_b32_e32 v18, v0
	v_pk_fma_f32 v[76:77], v[12:13], v[46:47], v[70:71] op_sel:[1,0,1] op_sel_hi:[1,1,0]
	v_pk_fma_f32 v[46:47], v[12:13], v[46:47], v[70:71] op_sel:[1,0,1] op_sel_hi:[1,1,0] neg_lo:[1,0,0] neg_hi:[1,0,0]
	v_mov_b32_e32 v61, v5
	v_mov_b32_e32 v65, v63
	;; [unrolled: 1-line block ×11, first 2 shown]
	v_pk_add_f32 v[4:5], v[60:61], v[64:65] neg_lo:[0,1] neg_hi:[0,1]
	v_pk_add_f32 v[6:7], v[50:51], v[6:7] neg_lo:[0,1] neg_hi:[0,1]
	v_pk_add_f32 v[14:15], v[74:75], v[36:37] neg_lo:[0,1] neg_hi:[0,1]
	v_pk_add_f32 v[16:17], v[32:33], v[56:57] neg_lo:[0,1] neg_hi:[0,1]
	v_pk_add_f32 v[26:27], v[20:21], v[66:67] neg_lo:[0,1] neg_hi:[0,1]
	v_pk_fma_f32 v[30:31], v[32:33], 2.0, v[16:17] op_sel_hi:[1,0,1] neg_lo:[0,0,1] neg_hi:[0,0,1]
	v_pk_fma_f32 v[32:33], v[74:75], 2.0, v[14:15] op_sel_hi:[1,0,1] neg_lo:[0,0,1] neg_hi:[0,0,1]
	;; [unrolled: 1-line block ×3, first 2 shown]
	v_pk_add_f32 v[32:33], v[30:31], v[32:33] neg_lo:[0,1] neg_hi:[0,1]
	s_waitcnt vmcnt(1)
	v_pk_mul_f32 v[28:29], v[28:29], v[40:41] op_sel_hi:[0,1]
	s_waitcnt vmcnt(0)
	v_pk_mul_f32 v[58:59], v[24:25], v[44:45] op_sel:[1,0]
	v_pk_fma_f32 v[52:53], v[10:11], v[40:41], v[28:29] op_sel:[0,0,1] op_sel_hi:[1,1,0]
	v_pk_fma_f32 v[10:11], v[10:11], v[40:41], v[28:29] op_sel:[0,0,1] op_sel_hi:[0,1,0] neg_lo:[1,0,0] neg_hi:[1,0,0]
	v_pk_fma_f32 v[28:29], v[8:9], v[44:45], v[58:59] op_sel:[1,0,1] op_sel_hi:[1,1,0]
	v_pk_fma_f32 v[8:9], v[8:9], v[44:45], v[58:59] op_sel:[1,0,1] op_sel_hi:[1,1,0] neg_lo:[1,0,0] neg_hi:[1,0,0]
	v_mov_b32_e32 v53, v11
	v_mov_b32_e32 v29, v9
	v_pk_mul_f32 v[22:23], v[22:23], v[38:39] op_sel_hi:[0,1]
	v_pk_add_f32 v[8:9], v[52:53], v[28:29] neg_lo:[0,1] neg_hi:[0,1]
	v_pk_fma_f32 v[28:29], v[0:1], v[38:39], v[22:23] op_sel:[1,0,1] op_sel_hi:[1,1,0]
	v_pk_fma_f32 v[0:1], v[0:1], v[38:39], v[22:23] op_sel:[1,0,1] op_sel_hi:[1,1,0] neg_lo:[1,0,0] neg_hi:[1,0,0]
	v_pk_add_f32 v[10:11], v[18:19], v[76:77] neg_lo:[0,1] neg_hi:[0,1]
	v_mov_b32_e32 v29, v1
	v_pk_mul_f32 v[0:1], v[24:25], v[42:43] op_sel_hi:[0,1]
	v_pk_fma_f32 v[22:23], v[12:13], v[42:43], v[0:1] op_sel:[0,0,1] op_sel_hi:[1,1,0]
	v_pk_fma_f32 v[0:1], v[12:13], v[42:43], v[0:1] op_sel:[0,0,1] op_sel_hi:[0,1,0] neg_lo:[1,0,0] neg_hi:[1,0,0]
	v_mov_b32_e32 v23, v1
	v_pk_add_f32 v[0:1], v[28:29], v[22:23] neg_lo:[0,1] neg_hi:[0,1]
	v_pk_fma_f32 v[12:13], v[52:53], 2.0, v[8:9] op_sel_hi:[1,0,1] neg_lo:[0,0,1] neg_hi:[0,0,1]
	v_pk_fma_f32 v[22:23], v[60:61], 2.0, v[4:5] op_sel_hi:[1,0,1] neg_lo:[0,0,1] neg_hi:[0,0,1]
	;; [unrolled: 1-line block ×5, first 2 shown]
	v_pk_add_f32 v[22:23], v[12:13], v[22:23] neg_lo:[0,1] neg_hi:[0,1]
	v_pk_add_f32 v[24:25], v[18:19], v[24:25] neg_lo:[0,1] neg_hi:[0,1]
	;; [unrolled: 1-line block ×3, first 2 shown]
	v_pk_fma_f32 v[18:19], v[18:19], 2.0, v[24:25] op_sel_hi:[1,0,1] neg_lo:[0,0,1] neg_hi:[0,0,1]
	v_pk_fma_f32 v[12:13], v[12:13], 2.0, v[22:23] op_sel_hi:[1,0,1] neg_lo:[0,0,1] neg_hi:[0,0,1]
	;; [unrolled: 1-line block ×4, first 2 shown]
	v_pk_add_f32 v[12:13], v[18:19], v[12:13] neg_lo:[0,1] neg_hi:[0,1]
	v_pk_add_f32 v[30:31], v[28:29], v[30:31] neg_lo:[0,1] neg_hi:[0,1]
	v_pk_fma_f32 v[18:19], v[18:19], 2.0, v[12:13] op_sel_hi:[1,0,1] neg_lo:[0,0,1] neg_hi:[0,0,1]
	v_pk_fma_f32 v[28:29], v[28:29], 2.0, v[30:31] op_sel_hi:[1,0,1] neg_lo:[0,0,1] neg_hi:[0,0,1]
	s_nop 0
	v_pk_add_f32 v[28:29], v[18:19], v[28:29] neg_lo:[0,1] neg_hi:[0,1]
	s_nop 0
	v_pk_fma_f32 v[18:19], v[18:19], 2.0, v[28:29] op_sel_hi:[1,0,1] neg_lo:[0,0,1] neg_hi:[0,0,1]
	global_store_dwordx2 v[2:3], v[18:19], off
	v_pk_add_f32 v[18:19], v[8:9], v[4:5] op_sel:[0,1] op_sel_hi:[1,0]
	v_pk_add_f32 v[4:5], v[8:9], v[4:5] op_sel:[0,1] op_sel_hi:[1,0] neg_lo:[0,1] neg_hi:[0,1]
	s_nop 0
	v_mov_b32_e32 v19, v5
	v_pk_add_f32 v[4:5], v[10:11], v[6:7] op_sel:[0,1] op_sel_hi:[1,0]
	v_pk_add_f32 v[6:7], v[10:11], v[6:7] op_sel:[0,1] op_sel_hi:[1,0] neg_lo:[0,1] neg_hi:[0,1]
	v_pk_fma_f32 v[8:9], v[8:9], 2.0, v[18:19] op_sel_hi:[1,0,1] neg_lo:[0,0,1] neg_hi:[0,0,1]
	v_mov_b32_e32 v5, v7
	v_pk_add_f32 v[6:7], v[16:17], v[14:15] op_sel:[0,1] op_sel_hi:[1,0]
	v_pk_add_f32 v[14:15], v[16:17], v[14:15] op_sel:[0,1] op_sel_hi:[1,0] neg_lo:[0,1] neg_hi:[0,1]
	v_pk_fma_f32 v[10:11], v[10:11], 2.0, v[4:5] op_sel_hi:[1,0,1] neg_lo:[0,0,1] neg_hi:[0,0,1]
	;; [unrolled: 4-line block ×3, first 2 shown]
	v_mov_b32_e32 v15, v27
	v_pk_mul_f32 v[26:27], v[8:9], s[0:1] op_sel_hi:[1,0]
	v_pk_fma_f32 v[8:9], v[8:9], s[0:1], v[10:11] op_sel_hi:[1,0,1] neg_lo:[1,0,0] neg_hi:[1,0,0]
	v_pk_fma_f32 v[0:1], v[0:1], 2.0, v[14:15] op_sel_hi:[1,0,1] neg_lo:[0,0,1] neg_hi:[0,0,1]
	v_pk_add_f32 v[34:35], v[8:9], v[26:27] op_sel:[0,1] op_sel_hi:[1,0]
	v_pk_add_f32 v[8:9], v[8:9], v[26:27] op_sel:[0,1] op_sel_hi:[1,0] neg_lo:[0,1] neg_hi:[0,1]
	v_pk_mul_f32 v[26:27], v[16:17], s[0:1] op_sel_hi:[1,0]
	v_pk_fma_f32 v[16:17], v[16:17], s[0:1], v[0:1] op_sel_hi:[1,0,1] neg_lo:[1,0,0] neg_hi:[1,0,0]
	v_mov_b32_e32 v35, v9
	v_pk_add_f32 v[36:37], v[16:17], v[26:27] op_sel:[0,1] op_sel_hi:[1,0]
	v_pk_add_f32 v[16:17], v[16:17], v[26:27] op_sel:[0,1] op_sel_hi:[1,0] neg_lo:[0,1] neg_hi:[0,1]
	v_fmamk_f32 v26, v36, 0x3ec3ef15, v34
	v_mov_b32_e32 v37, v17
	v_pk_fma_f32 v[0:1], v[0:1], 2.0, v[36:37] op_sel_hi:[1,0,1] neg_lo:[0,0,1] neg_hi:[0,0,1]
	v_pk_fma_f32 v[10:11], v[10:11], 2.0, v[34:35] op_sel_hi:[1,0,1] neg_lo:[0,0,1] neg_hi:[0,0,1]
	v_fmamk_f32 v8, v17, 0x3ec3ef15, v9
	v_fmac_f32_e32 v26, 0x3f6c835e, v17
	v_pk_mul_f32 v[16:17], v[0:1], s[2:3] op_sel_hi:[1,0]
	v_pk_fma_f32 v[0:1], v[0:1], s[4:5], v[10:11] op_sel_hi:[1,0,1] neg_lo:[1,0,0] neg_hi:[1,0,0]
	v_fmamk_f32 v27, v36, 0xbf6c835e, v8
	v_fma_f32 v8, v34, 2.0, -v26
	v_pk_add_f32 v[34:35], v[0:1], v[16:17] op_sel:[0,1] op_sel_hi:[1,0]
	v_pk_add_f32 v[0:1], v[0:1], v[16:17] op_sel:[0,1] op_sel_hi:[1,0] neg_lo:[0,1] neg_hi:[0,1]
	v_pk_add_f32 v[16:17], v[20:21], v[32:33] op_sel:[0,1] op_sel_hi:[1,0] neg_lo:[0,1] neg_hi:[0,1]
	v_mov_b32_e32 v35, v1
	v_pk_fma_f32 v[0:1], v[10:11], 2.0, v[34:35] op_sel_hi:[1,0,1] neg_lo:[0,0,1] neg_hi:[0,0,1]
	global_store_dwordx2 v[2:3], v[0:1], off offset:104
	v_pk_add_f32 v[0:1], v[24:25], v[22:23] op_sel:[0,1] op_sel_hi:[1,0]
	v_pk_add_f32 v[10:11], v[24:25], v[22:23] op_sel:[0,1] op_sel_hi:[1,0] neg_lo:[0,1] neg_hi:[0,1]
	v_fma_f32 v9, v9, 2.0, -v27
	v_mov_b32_e32 v1, v11
	v_pk_add_f32 v[10:11], v[20:21], v[32:33] op_sel:[0,1] op_sel_hi:[1,0]
	v_pk_fma_f32 v[22:23], v[24:25], 2.0, v[0:1] op_sel_hi:[1,0,1] neg_lo:[0,0,1] neg_hi:[0,0,1]
	v_mov_b32_e32 v11, v17
	v_pk_fma_f32 v[16:17], v[20:21], 2.0, v[10:11] op_sel_hi:[1,0,1] neg_lo:[0,0,1] neg_hi:[0,0,1]
	s_nop 0
	v_pk_mul_f32 v[20:21], v[16:17], s[0:1] op_sel_hi:[1,0]
	v_pk_fma_f32 v[16:17], v[16:17], s[0:1], v[22:23] op_sel_hi:[1,0,1] neg_lo:[1,0,0] neg_hi:[1,0,0]
	s_nop 0
	v_pk_add_f32 v[24:25], v[16:17], v[20:21] op_sel:[0,1] op_sel_hi:[1,0]
	v_pk_add_f32 v[16:17], v[16:17], v[20:21] op_sel:[0,1] op_sel_hi:[1,0] neg_lo:[0,1] neg_hi:[0,1]
	s_nop 0
	v_mov_b32_e32 v25, v17
	v_pk_fma_f32 v[16:17], v[22:23], 2.0, v[24:25] op_sel_hi:[1,0,1] neg_lo:[0,0,1] neg_hi:[0,0,1]
	global_store_dwordx2 v[2:3], v[16:17], off offset:208
	v_pk_mul_f32 v[16:17], v[18:19], s[0:1] op_sel_hi:[1,0]
	v_pk_fma_f32 v[18:19], v[18:19], s[0:1], v[4:5] op_sel_hi:[1,0,1]
	s_nop 0
	v_pk_add_f32 v[20:21], v[18:19], v[16:17] op_sel:[0,1] op_sel_hi:[1,0]
	v_pk_add_f32 v[16:17], v[18:19], v[16:17] op_sel:[0,1] op_sel_hi:[1,0] neg_lo:[0,1] neg_hi:[0,1]
	v_pk_mul_f32 v[18:19], v[6:7], s[0:1] op_sel_hi:[1,0]
	v_pk_fma_f32 v[6:7], v[6:7], s[0:1], v[14:15] op_sel_hi:[1,0,1]
	v_mov_b32_e32 v21, v17
	v_pk_add_f32 v[22:23], v[6:7], v[18:19] op_sel:[0,1] op_sel_hi:[1,0]
	v_pk_add_f32 v[6:7], v[6:7], v[18:19] op_sel:[0,1] op_sel_hi:[1,0] neg_lo:[0,1] neg_hi:[0,1]
	v_fmamk_f32 v18, v22, 0x3f6c835e, v20
	v_mov_b32_e32 v23, v7
	v_fmamk_f32 v6, v7, 0x3f6c835e, v17
	v_fmamk_f32 v19, v22, 0xbec3ef15, v6
	v_fmac_f32_e32 v18, 0x3ec3ef15, v7
	v_pk_fma_f32 v[6:7], v[14:15], 2.0, v[22:23] op_sel_hi:[1,0,1] neg_lo:[0,0,1] neg_hi:[0,0,1]
	v_pk_fma_f32 v[4:5], v[4:5], 2.0, v[20:21] op_sel_hi:[1,0,1] neg_lo:[0,0,1] neg_hi:[0,0,1]
	v_pk_mul_f32 v[14:15], v[6:7], s[4:5] op_sel_hi:[1,0]
	v_pk_fma_f32 v[6:7], v[6:7], s[2:3], v[4:5] op_sel_hi:[1,0,1] neg_lo:[1,0,0] neg_hi:[1,0,0]
	v_fma_f32 v16, v20, 2.0, -v18
	v_pk_add_f32 v[20:21], v[6:7], v[14:15] op_sel:[0,1] op_sel_hi:[1,0]
	v_pk_add_f32 v[6:7], v[6:7], v[14:15] op_sel:[0,1] op_sel_hi:[1,0] neg_lo:[0,1] neg_hi:[0,1]
	v_fma_f32 v17, v17, 2.0, -v19
	v_mov_b32_e32 v21, v7
	v_pk_fma_f32 v[4:5], v[4:5], 2.0, v[20:21] op_sel_hi:[1,0,1] neg_lo:[0,0,1] neg_hi:[0,0,1]
	global_store_dwordx2 v[2:3], v[4:5], off offset:312
	v_pk_add_f32 v[4:5], v[12:13], v[30:31] op_sel:[0,1] op_sel_hi:[1,0]
	v_pk_add_f32 v[6:7], v[12:13], v[30:31] op_sel:[0,1] op_sel_hi:[1,0] neg_lo:[0,1] neg_hi:[0,1]
	s_nop 0
	v_mov_b32_e32 v5, v7
	v_pk_fma_f32 v[6:7], v[12:13], 2.0, v[4:5] op_sel_hi:[1,0,1] neg_lo:[0,0,1] neg_hi:[0,0,1]
	global_store_dwordx2 v[2:3], v[6:7], off offset:416
	global_store_dwordx2 v[2:3], v[8:9], off offset:520
	v_pk_mul_f32 v[6:7], v[10:11], s[0:1] op_sel_hi:[1,0]
	v_pk_fma_f32 v[8:9], v[10:11], s[0:1], v[0:1] op_sel_hi:[1,0,1]
	s_nop 0
	v_pk_add_f32 v[10:11], v[8:9], v[6:7] op_sel:[0,1] op_sel_hi:[1,0]
	v_pk_add_f32 v[6:7], v[8:9], v[6:7] op_sel:[0,1] op_sel_hi:[1,0] neg_lo:[0,1] neg_hi:[0,1]
	s_nop 0
	v_mov_b32_e32 v11, v7
	v_pk_fma_f32 v[0:1], v[0:1], 2.0, v[10:11] op_sel_hi:[1,0,1] neg_lo:[0,0,1] neg_hi:[0,0,1]
	global_store_dwordx2 v[2:3], v[0:1], off offset:624
	global_store_dwordx2 v[2:3], v[16:17], off offset:728
	;; [unrolled: 1-line block ×10, first 2 shown]
.LBB0_23:
	s_endpgm
	.section	.rodata,"a",@progbits
	.p2align	6, 0x0
	.amdhsa_kernel fft_rtc_back_len208_factors_13_16_wgs_64_tpt_16_halfLds_sp_op_CI_CI_unitstride_sbrr_dirReg
		.amdhsa_group_segment_fixed_size 0
		.amdhsa_private_segment_fixed_size 0
		.amdhsa_kernarg_size 104
		.amdhsa_user_sgpr_count 2
		.amdhsa_user_sgpr_dispatch_ptr 0
		.amdhsa_user_sgpr_queue_ptr 0
		.amdhsa_user_sgpr_kernarg_segment_ptr 1
		.amdhsa_user_sgpr_dispatch_id 0
		.amdhsa_user_sgpr_kernarg_preload_length 0
		.amdhsa_user_sgpr_kernarg_preload_offset 0
		.amdhsa_user_sgpr_private_segment_size 0
		.amdhsa_uses_dynamic_stack 0
		.amdhsa_enable_private_segment 0
		.amdhsa_system_sgpr_workgroup_id_x 1
		.amdhsa_system_sgpr_workgroup_id_y 0
		.amdhsa_system_sgpr_workgroup_id_z 0
		.amdhsa_system_sgpr_workgroup_info 0
		.amdhsa_system_vgpr_workitem_id 0
		.amdhsa_next_free_vgpr 90
		.amdhsa_next_free_sgpr 46
		.amdhsa_accum_offset 92
		.amdhsa_reserve_vcc 1
		.amdhsa_float_round_mode_32 0
		.amdhsa_float_round_mode_16_64 0
		.amdhsa_float_denorm_mode_32 3
		.amdhsa_float_denorm_mode_16_64 3
		.amdhsa_dx10_clamp 1
		.amdhsa_ieee_mode 1
		.amdhsa_fp16_overflow 0
		.amdhsa_tg_split 0
		.amdhsa_exception_fp_ieee_invalid_op 0
		.amdhsa_exception_fp_denorm_src 0
		.amdhsa_exception_fp_ieee_div_zero 0
		.amdhsa_exception_fp_ieee_overflow 0
		.amdhsa_exception_fp_ieee_underflow 0
		.amdhsa_exception_fp_ieee_inexact 0
		.amdhsa_exception_int_div_zero 0
	.end_amdhsa_kernel
	.text
.Lfunc_end0:
	.size	fft_rtc_back_len208_factors_13_16_wgs_64_tpt_16_halfLds_sp_op_CI_CI_unitstride_sbrr_dirReg, .Lfunc_end0-fft_rtc_back_len208_factors_13_16_wgs_64_tpt_16_halfLds_sp_op_CI_CI_unitstride_sbrr_dirReg
                                        ; -- End function
	.section	.AMDGPU.csdata,"",@progbits
; Kernel info:
; codeLenInByte = 6772
; NumSgprs: 52
; NumVgprs: 90
; NumAgprs: 0
; TotalNumVgprs: 90
; ScratchSize: 0
; MemoryBound: 0
; FloatMode: 240
; IeeeMode: 1
; LDSByteSize: 0 bytes/workgroup (compile time only)
; SGPRBlocks: 6
; VGPRBlocks: 11
; NumSGPRsForWavesPerEU: 52
; NumVGPRsForWavesPerEU: 90
; AccumOffset: 92
; Occupancy: 5
; WaveLimiterHint : 1
; COMPUTE_PGM_RSRC2:SCRATCH_EN: 0
; COMPUTE_PGM_RSRC2:USER_SGPR: 2
; COMPUTE_PGM_RSRC2:TRAP_HANDLER: 0
; COMPUTE_PGM_RSRC2:TGID_X_EN: 1
; COMPUTE_PGM_RSRC2:TGID_Y_EN: 0
; COMPUTE_PGM_RSRC2:TGID_Z_EN: 0
; COMPUTE_PGM_RSRC2:TIDIG_COMP_CNT: 0
; COMPUTE_PGM_RSRC3_GFX90A:ACCUM_OFFSET: 22
; COMPUTE_PGM_RSRC3_GFX90A:TG_SPLIT: 0
	.text
	.p2alignl 6, 3212836864
	.fill 256, 4, 3212836864
	.type	__hip_cuid_3981f50cb36d4ab1,@object ; @__hip_cuid_3981f50cb36d4ab1
	.section	.bss,"aw",@nobits
	.globl	__hip_cuid_3981f50cb36d4ab1
__hip_cuid_3981f50cb36d4ab1:
	.byte	0                               ; 0x0
	.size	__hip_cuid_3981f50cb36d4ab1, 1

	.ident	"AMD clang version 19.0.0git (https://github.com/RadeonOpenCompute/llvm-project roc-6.4.0 25133 c7fe45cf4b819c5991fe208aaa96edf142730f1d)"
	.section	".note.GNU-stack","",@progbits
	.addrsig
	.addrsig_sym __hip_cuid_3981f50cb36d4ab1
	.amdgpu_metadata
---
amdhsa.kernels:
  - .agpr_count:     0
    .args:
      - .actual_access:  read_only
        .address_space:  global
        .offset:         0
        .size:           8
        .value_kind:     global_buffer
      - .offset:         8
        .size:           8
        .value_kind:     by_value
      - .actual_access:  read_only
        .address_space:  global
        .offset:         16
        .size:           8
        .value_kind:     global_buffer
      - .actual_access:  read_only
        .address_space:  global
        .offset:         24
        .size:           8
        .value_kind:     global_buffer
      - .actual_access:  read_only
        .address_space:  global
        .offset:         32
        .size:           8
        .value_kind:     global_buffer
      - .offset:         40
        .size:           8
        .value_kind:     by_value
      - .actual_access:  read_only
        .address_space:  global
        .offset:         48
        .size:           8
        .value_kind:     global_buffer
      - .actual_access:  read_only
        .address_space:  global
        .offset:         56
        .size:           8
        .value_kind:     global_buffer
      - .offset:         64
        .size:           4
        .value_kind:     by_value
      - .actual_access:  read_only
        .address_space:  global
        .offset:         72
        .size:           8
        .value_kind:     global_buffer
      - .actual_access:  read_only
        .address_space:  global
        .offset:         80
        .size:           8
        .value_kind:     global_buffer
      - .actual_access:  read_only
        .address_space:  global
        .offset:         88
        .size:           8
        .value_kind:     global_buffer
      - .actual_access:  write_only
        .address_space:  global
        .offset:         96
        .size:           8
        .value_kind:     global_buffer
    .group_segment_fixed_size: 0
    .kernarg_segment_align: 8
    .kernarg_segment_size: 104
    .language:       OpenCL C
    .language_version:
      - 2
      - 0
    .max_flat_workgroup_size: 64
    .name:           fft_rtc_back_len208_factors_13_16_wgs_64_tpt_16_halfLds_sp_op_CI_CI_unitstride_sbrr_dirReg
    .private_segment_fixed_size: 0
    .sgpr_count:     52
    .sgpr_spill_count: 0
    .symbol:         fft_rtc_back_len208_factors_13_16_wgs_64_tpt_16_halfLds_sp_op_CI_CI_unitstride_sbrr_dirReg.kd
    .uniform_work_group_size: 1
    .uses_dynamic_stack: false
    .vgpr_count:     90
    .vgpr_spill_count: 0
    .wavefront_size: 64
amdhsa.target:   amdgcn-amd-amdhsa--gfx950
amdhsa.version:
  - 1
  - 2
...

	.end_amdgpu_metadata
